;; amdgpu-corpus repo=ROCm/rocFFT kind=compiled arch=gfx1030 opt=O3
	.text
	.amdgcn_target "amdgcn-amd-amdhsa--gfx1030"
	.amdhsa_code_object_version 6
	.protected	fft_rtc_back_len192_factors_6_4_4_2_wgs_256_tpt_32_dp_op_CI_CI_sbrc_aligned_dirReg ; -- Begin function fft_rtc_back_len192_factors_6_4_4_2_wgs_256_tpt_32_dp_op_CI_CI_sbrc_aligned_dirReg
	.globl	fft_rtc_back_len192_factors_6_4_4_2_wgs_256_tpt_32_dp_op_CI_CI_sbrc_aligned_dirReg
	.p2align	8
	.type	fft_rtc_back_len192_factors_6_4_4_2_wgs_256_tpt_32_dp_op_CI_CI_sbrc_aligned_dirReg,@function
fft_rtc_back_len192_factors_6_4_4_2_wgs_256_tpt_32_dp_op_CI_CI_sbrc_aligned_dirReg: ; @fft_rtc_back_len192_factors_6_4_4_2_wgs_256_tpt_32_dp_op_CI_CI_sbrc_aligned_dirReg
; %bb.0:
	s_clause 0x2
	s_load_dwordx8 s[8:15], s[4:5], 0x0
	s_load_dwordx2 s[24:25], s[4:5], 0x20
	s_load_dwordx4 s[16:19], s[4:5], 0x58
	s_mov_b32 s30, 0
	s_mov_b32 s28, 3
	s_mov_b64 s[34:35], 2
	s_mov_b32 s27, s30
	s_waitcnt lgkmcnt(0)
	s_load_dword s0, s[12:13], 0x8
	s_load_dwordx4 s[20:23], s[14:15], 0x0
	s_waitcnt lgkmcnt(0)
	s_add_i32 s0, s0, -1
	s_lshr_b32 s0, s0, 3
	s_add_i32 s7, s0, 1
	v_cvt_f32_u32_e32 v1, s7
	s_sub_i32 s1, 0, s7
	v_rcp_iflag_f32_e32 v1, v1
	v_mul_f32_e32 v1, 0x4f7ffffe, v1
	v_cvt_u32_f32_e32 v1, v1
	v_readfirstlane_b32 s0, v1
	s_mul_i32 s1, s1, s0
	s_mul_hi_u32 s1, s0, s1
	s_add_i32 s0, s0, s1
	s_mul_hi_u32 s4, s6, s0
	s_load_dwordx4 s[0:3], s[24:25], 0x0
	s_mul_i32 s5, s4, s7
	s_waitcnt lgkmcnt(0)
	s_sub_i32 s3, s6, s5
	s_add_i32 s5, s4, 1
	s_sub_i32 s23, s3, s7
	s_cmp_ge_u32 s3, s7
	s_cselect_b32 s4, s5, s4
	s_cselect_b32 s3, s23, s3
	s_add_i32 s5, s4, 1
	s_cmp_ge_u32 s3, s7
	s_cselect_b32 s3, s5, s4
	v_cmp_gt_u64_e64 s4, s[10:11], 2
	s_mul_i32 s5, s3, s7
	s_sub_i32 s5, s6, s5
	s_lshl_b32 s5, s5, 3
	s_and_b32 vcc_lo, exec_lo, s4
	s_mul_i32 s23, s1, s5
	s_mul_hi_u32 s29, s0, s5
	s_mul_i32 s26, s5, s22
	s_mul_i32 s4, s0, s5
	s_add_i32 s5, s29, s23
	s_cbranch_vccz .LBB0_8
.LBB0_1:                                ; =>This Inner Loop Header: Depth=1
	s_lshl_b64 s[36:37], s[34:35], 3
	s_add_u32 s34, s12, s36
	s_addc_u32 s35, s13, s37
	s_load_dwordx2 s[34:35], s[34:35], 0x0
	s_waitcnt lgkmcnt(0)
	s_mov_b32 s31, s35
	s_cmp_lg_u64 s[30:31], 0
	s_cbranch_scc0 .LBB0_6
; %bb.2:                                ;   in Loop: Header=BB0_1 Depth=1
	v_cvt_f32_u32_e32 v1, s34
	v_cvt_f32_u32_e32 v2, s35
	s_sub_u32 s31, 0, s34
	s_subb_u32 s33, 0, s35
	v_fmac_f32_e32 v1, 0x4f800000, v2
	v_rcp_f32_e32 v1, v1
	v_mul_f32_e32 v1, 0x5f7ffffc, v1
	v_mul_f32_e32 v2, 0x2f800000, v1
	v_trunc_f32_e32 v2, v2
	v_fmac_f32_e32 v1, 0xcf800000, v2
	v_cvt_u32_f32_e32 v2, v2
	v_cvt_u32_f32_e32 v1, v1
	v_readfirstlane_b32 s23, v2
	v_readfirstlane_b32 s29, v1
	s_mul_i32 s38, s31, s23
	s_mul_hi_u32 s40, s31, s29
	s_mul_i32 s39, s33, s29
	s_add_i32 s38, s40, s38
	s_mul_i32 s41, s31, s29
	s_add_i32 s38, s38, s39
	s_mul_hi_u32 s40, s29, s41
	s_mul_hi_u32 s42, s23, s41
	s_mul_i32 s39, s23, s41
	s_mul_hi_u32 s41, s29, s38
	s_mul_i32 s29, s29, s38
	s_mul_hi_u32 s43, s23, s38
	s_add_u32 s29, s40, s29
	s_addc_u32 s40, 0, s41
	s_add_u32 s29, s29, s39
	s_mul_i32 s38, s23, s38
	s_addc_u32 s29, s40, s42
	s_addc_u32 s39, s43, 0
	s_add_u32 s29, s29, s38
	s_addc_u32 s38, 0, s39
	v_add_co_u32 v1, s29, v1, s29
	s_cmp_lg_u32 s29, 0
	s_addc_u32 s23, s23, s38
	v_readfirstlane_b32 s29, v1
	s_mul_i32 s38, s31, s23
	s_mul_hi_u32 s39, s31, s29
	s_mul_i32 s33, s33, s29
	s_add_i32 s38, s39, s38
	s_mul_i32 s31, s31, s29
	s_add_i32 s38, s38, s33
	s_mul_hi_u32 s39, s23, s31
	s_mul_i32 s40, s23, s31
	s_mul_hi_u32 s31, s29, s31
	s_mul_hi_u32 s41, s29, s38
	s_mul_i32 s29, s29, s38
	s_mul_hi_u32 s33, s23, s38
	s_add_u32 s29, s31, s29
	s_addc_u32 s31, 0, s41
	s_add_u32 s29, s29, s40
	s_mul_i32 s38, s23, s38
	s_addc_u32 s29, s31, s39
	s_addc_u32 s31, s33, 0
	s_add_u32 s29, s29, s38
	s_addc_u32 s31, 0, s31
	v_add_co_u32 v1, s29, v1, s29
	s_cmp_lg_u32 s29, 0
	s_addc_u32 s23, s23, s31
	v_readfirstlane_b32 s29, v1
	s_mul_i32 s31, s3, s23
	s_mul_hi_u32 s23, s3, s23
	s_mul_hi_u32 s29, s3, s29
	s_add_u32 s29, s29, s31
	s_addc_u32 s29, 0, s23
	s_mul_i32 s23, s35, s29
	s_mul_hi_u32 s31, s34, s29
	s_mul_i32 s33, s34, s29
	s_add_i32 s31, s31, s23
	v_sub_co_u32 v1, s23, s3, s33
	s_sub_i32 s33, 0, s31
	s_cmp_lg_u32 s23, 0
	v_sub_co_u32 v2, s38, v1, s34
	s_subb_u32 s33, s33, s35
	s_cmp_lg_u32 s38, 0
	v_readfirstlane_b32 s38, v2
	s_subb_u32 s33, s33, 0
	s_cmp_ge_u32 s33, s35
	s_cselect_b32 s39, -1, 0
	s_cmp_ge_u32 s38, s34
	s_cselect_b32 s38, -1, 0
	s_cmp_eq_u32 s33, s35
	s_cselect_b32 s33, s38, s39
	s_add_u32 s38, s29, 1
	s_addc_u32 s39, 0, 0
	s_add_u32 s40, s29, 2
	s_addc_u32 s41, 0, 0
	s_cmp_lg_u32 s33, 0
	s_cselect_b32 s33, s40, s38
	s_cselect_b32 s38, s41, s39
	s_cmp_lg_u32 s23, 0
	v_readfirstlane_b32 s23, v1
	s_subb_u32 s31, 0, s31
	s_cmp_ge_u32 s31, s35
	s_cselect_b32 s39, -1, 0
	s_cmp_ge_u32 s23, s34
	s_cselect_b32 s23, -1, 0
	s_cmp_eq_u32 s31, s35
	s_cselect_b32 s23, s23, s39
	s_cmp_lg_u32 s23, 0
	s_cselect_b32 s39, s38, 0
	s_cselect_b32 s38, s33, s29
	s_cbranch_execnz .LBB0_4
.LBB0_3:                                ;   in Loop: Header=BB0_1 Depth=1
	v_cvt_f32_u32_e32 v1, s34
	s_sub_i32 s29, 0, s34
	s_mov_b32 s39, s30
	v_rcp_iflag_f32_e32 v1, v1
	v_mul_f32_e32 v1, 0x4f7ffffe, v1
	v_cvt_u32_f32_e32 v1, v1
	v_readfirstlane_b32 s23, v1
	s_mul_i32 s29, s29, s23
	s_mul_hi_u32 s29, s23, s29
	s_add_i32 s23, s23, s29
	s_mul_hi_u32 s23, s3, s23
	s_mul_i32 s29, s23, s34
	s_add_i32 s31, s23, 1
	s_sub_i32 s29, s3, s29
	s_sub_i32 s33, s29, s34
	s_cmp_ge_u32 s29, s34
	s_cselect_b32 s23, s31, s23
	s_cselect_b32 s29, s33, s29
	s_add_i32 s31, s23, 1
	s_cmp_ge_u32 s29, s34
	s_cselect_b32 s38, s31, s23
.LBB0_4:                                ;   in Loop: Header=BB0_1 Depth=1
	s_mul_i32 s23, s38, s35
	s_mul_hi_u32 s29, s38, s34
	s_mul_i32 s31, s38, s34
	s_add_i32 s23, s29, s23
	s_mul_i32 s29, s39, s34
	s_mul_i32 s7, s7, s34
	s_add_i32 s23, s23, s29
	s_sub_u32 s3, s3, s31
	s_subb_u32 s23, 0, s23
	s_add_u32 s40, s14, s36
	s_addc_u32 s41, s15, s37
	s_load_dwordx2 s[40:41], s[40:41], 0x0
	s_waitcnt lgkmcnt(0)
	s_mul_i32 s29, s40, s23
	s_mul_hi_u32 s31, s40, s3
	s_mul_i32 s33, s41, s3
	s_add_i32 s29, s31, s29
	s_mul_i32 s31, s40, s3
	s_add_i32 s29, s29, s33
	s_add_u32 s26, s31, s26
	s_addc_u32 s27, s29, s27
	s_add_u32 s36, s24, s36
	s_addc_u32 s37, s25, s37
	s_mov_b32 s29, s30
	s_load_dwordx2 s[36:37], s[36:37], 0x0
	s_mov_b64 s[34:35], s[28:29]
	v_cmp_ge_u64_e64 s29, s[28:29], s[10:11]
	s_waitcnt lgkmcnt(0)
	s_mul_i32 s23, s36, s23
	s_mul_hi_u32 s31, s36, s3
	s_mul_i32 s33, s37, s3
	s_add_i32 s23, s31, s23
	s_mul_i32 s3, s36, s3
	s_add_i32 s23, s23, s33
	s_add_u32 s4, s3, s4
	s_addc_u32 s5, s23, s5
	s_and_b32 vcc_lo, exec_lo, s29
	s_add_i32 s28, s28, 1
	s_cbranch_vccnz .LBB0_7
; %bb.5:                                ;   in Loop: Header=BB0_1 Depth=1
	s_mov_b32 s3, s38
	s_branch .LBB0_1
.LBB0_6:                                ;   in Loop: Header=BB0_1 Depth=1
                                        ; implicit-def: $sgpr38_sgpr39
	s_branch .LBB0_3
.LBB0_7:
	v_cvt_f32_u32_e32 v1, s7
	s_sub_i32 s12, 0, s7
	v_rcp_iflag_f32_e32 v1, v1
	v_mul_f32_e32 v1, 0x4f7ffffe, v1
	v_cvt_u32_f32_e32 v1, v1
	v_readfirstlane_b32 s3, v1
	s_mul_i32 s12, s12, s3
	s_mul_hi_u32 s12, s3, s12
	s_add_i32 s3, s3, s12
	s_mul_hi_u32 s3, s6, s3
	s_mul_i32 s12, s3, s7
	s_sub_i32 s6, s6, s12
	s_add_i32 s12, s3, 1
	s_sub_i32 s13, s6, s7
	s_cmp_ge_u32 s6, s7
	s_cselect_b32 s3, s12, s3
	s_cselect_b32 s6, s13, s6
	s_add_i32 s12, s3, 1
	s_cmp_ge_u32 s6, s7
	s_cselect_b32 s3, s12, s3
.LBB0_8:
	v_mul_u32_u24_e32 v1, 0x156, v0
	v_or_b32_e32 v5, 0x100, v0
	v_mov_b32_e32 v2, 0x156
	v_or_b32_e32 v7, 0x200, v0
	v_mov_b32_e32 v11, 0x2ab
	v_lshrrev_b32_e32 v25, 16, v1
	s_lshl_b64 s[6:7], s[10:11], 3
	v_mul_u32_u24_sdwa v2, v5, v2 dst_sel:DWORD dst_unused:UNUSED_PAD src0_sel:WORD_0 src1_sel:DWORD
	s_add_u32 s10, s14, s6
	v_mul_u32_u24_sdwa v3, v7, v11 dst_sel:DWORD dst_unused:UNUSED_PAD src0_sel:WORD_0 src1_sel:DWORD
	v_mul_lo_u16 v1, 0xc0, v25
	s_addc_u32 s11, s15, s7
	v_lshrrev_b32_e32 v27, 16, v2
	s_load_dwordx2 s[10:11], s[10:11], 0x0
	v_lshrrev_b32_e32 v28, 17, v3
	v_sub_nc_u16 v26, v0, v1
	v_mul_lo_u32 v1, s22, v25
	v_mul_lo_u16 v6, 0xc0, v27
	v_mov_b32_e32 v2, 0
	v_mul_lo_u16 v8, 0xc0, v28
	v_and_b32_e32 v9, 0xffff, v26
	v_or_b32_e32 v12, 0x300, v0
	v_sub_nc_u16 v29, v5, v6
	v_or_b32_e32 v16, 0x500, v0
	v_lshlrev_b64 v[5:6], 4, v[1:2]
	v_mad_u64_u32 v[3:4], null, s20, v9, 0
	v_and_b32_e32 v14, 0xffff, v29
	v_sub_nc_u16 v30, v7, v8
	v_mul_u32_u24_sdwa v13, v12, v11 dst_sel:DWORD dst_unused:UNUSED_PAD src0_sel:WORD_0 src1_sel:DWORD
	v_lshlrev_b16 v26, 3, v26
	v_lshrrev_b32_e32 v36, 3, v0
	v_mad_u64_u32 v[7:8], null, s20, v14, 0
	v_mov_b32_e32 v1, v4
	s_waitcnt lgkmcnt(0)
	s_mul_i32 s11, s11, s3
	s_mul_hi_u32 s12, s10, s3
	s_mul_i32 s10, s10, s3
	s_add_i32 s11, s12, s11
	v_mad_u64_u32 v[9:10], null, s21, v9, v[1:2]
	s_add_u32 s6, s24, s6
	s_addc_u32 s7, s25, s7
	s_lshl_b64 s[10:11], s[10:11], 4
	v_mov_b32_e32 v1, v8
	v_and_b32_e32 v15, 0xffff, v30
	s_add_u32 s12, s16, s10
	v_mov_b32_e32 v4, v9
	s_addc_u32 s13, s17, s11
	s_lshl_b64 s[10:11], s[26:27], 4
	v_mad_u64_u32 v[8:9], null, s21, v14, v[1:2]
	v_lshlrev_b64 v[3:4], 4, v[3:4]
	s_add_u32 s10, s12, s10
	v_mad_u64_u32 v[9:10], null, s20, v15, 0
	s_addc_u32 s11, s13, s11
	v_lshrrev_b32_e32 v31, 17, v13
	v_add_co_u32 v1, vcc_lo, s10, v3
	v_add_co_ci_u32_e32 v4, vcc_lo, s11, v4, vcc_lo
	v_or_b32_e32 v13, 0x400, v0
	v_add_co_u32 v3, vcc_lo, v1, v5
	v_add_co_ci_u32_e32 v4, vcc_lo, v4, v6, vcc_lo
	v_lshlrev_b64 v[5:6], 4, v[7:8]
	v_mov_b32_e32 v7, v10
	v_mul_u32_u24_sdwa v14, v13, v11 dst_sel:DWORD dst_unused:UNUSED_PAD src0_sel:WORD_0 src1_sel:DWORD
	v_mul_lo_u32 v1, s22, v27
	v_mul_lo_u16 v10, 0xc0, v31
	v_or_b32_e32 v25, v26, v25
	v_mad_u64_u32 v[7:8], null, s21, v15, v[7:8]
	v_lshrrev_b32_e32 v37, 17, v14
	v_mul_u32_u24_sdwa v8, v16, v11 dst_sel:DWORD dst_unused:UNUSED_PAD src0_sel:WORD_0 src1_sel:DWORD
	v_add_co_u32 v11, vcc_lo, s10, v5
	v_sub_nc_u16 v32, v12, v10
	v_add_co_ci_u32_e32 v12, vcc_lo, s11, v6, vcc_lo
	v_lshlrev_b64 v[5:6], 4, v[1:2]
	v_mul_lo_u16 v1, 0xc0, v37
	v_lshrrev_b32_e32 v38, 17, v8
	v_and_b32_e32 v14, 0xffff, v32
	v_mov_b32_e32 v10, v7
	v_lshlrev_b16 v26, 3, v29
	v_sub_nc_u16 v39, v13, v1
	v_mul_lo_u16 v1, 0xc0, v38
	v_mad_u64_u32 v[7:8], null, s20, v14, 0
	v_add_co_u32 v5, vcc_lo, v11, v5
	v_and_b32_e32 v18, 0xffff, v39
	v_sub_nc_u16 v40, v16, v1
	v_lshlrev_b64 v[9:10], 4, v[9:10]
	v_add_co_ci_u32_e32 v6, vcc_lo, v12, v6, vcc_lo
	v_mad_u64_u32 v[11:12], null, s20, v18, 0
	v_and_b32_e32 v20, 0xffff, v40
	v_mul_lo_u32 v1, s22, v28
	v_mad_u64_u32 v[13:14], null, s21, v14, v[8:9]
	v_add_co_u32 v19, vcc_lo, s10, v9
	v_mad_u64_u32 v[14:15], null, s20, v20, 0
	v_mov_b32_e32 v9, v12
	v_lshlrev_b64 v[16:17], 4, v[1:2]
	v_mov_b32_e32 v8, v13
	v_add_co_ci_u32_e32 v21, vcc_lo, s11, v10, vcc_lo
	v_mad_u64_u32 v[9:10], null, s21, v18, v[9:10]
	v_mul_lo_u32 v1, s22, v31
	v_mov_b32_e32 v10, v15
	v_add_co_u32 v16, vcc_lo, v19, v16
	v_lshlrev_b64 v[7:8], 4, v[7:8]
	v_add_co_ci_u32_e32 v17, vcc_lo, v21, v17, vcc_lo
	v_mad_u64_u32 v[20:21], null, s21, v20, v[10:11]
	v_lshlrev_b64 v[18:19], 4, v[1:2]
	v_mul_lo_u32 v1, s22, v37
	v_mov_b32_e32 v12, v9
	v_add_co_u32 v9, vcc_lo, s10, v7
	v_add_co_ci_u32_e32 v10, vcc_lo, s11, v8, vcc_lo
	v_mov_b32_e32 v15, v20
	v_add_co_u32 v18, vcc_lo, v9, v18
	v_lshlrev_b64 v[7:8], 4, v[11:12]
	v_add_co_ci_u32_e32 v19, vcc_lo, v10, v19, vcc_lo
	v_lshlrev_b64 v[9:10], 4, v[1:2]
	v_mul_lo_u32 v1, s22, v38
	v_lshlrev_b64 v[11:12], 4, v[14:15]
	v_add_co_u32 v7, vcc_lo, s10, v7
	v_add_co_ci_u32_e32 v8, vcc_lo, s11, v8, vcc_lo
	v_lshlrev_b16 v29, 3, v30
	v_add_co_u32 v11, vcc_lo, s10, v11
	v_lshlrev_b64 v[1:2], 4, v[1:2]
	v_add_co_ci_u32_e32 v12, vcc_lo, s11, v12, vcc_lo
	v_add_co_u32 v20, vcc_lo, v7, v9
	v_add_co_ci_u32_e32 v21, vcc_lo, v8, v10, vcc_lo
	v_add_co_u32 v22, vcc_lo, v11, v1
	v_add_co_ci_u32_e32 v23, vcc_lo, v12, v2, vcc_lo
	s_clause 0x5
	global_load_dwordx4 v[1:4], v[3:4], off
	global_load_dwordx4 v[5:8], v[5:6], off
	;; [unrolled: 1-line block ×6, first 2 shown]
	v_lshlrev_b16 v30, 3, v32
	v_lshlrev_b16 v32, 3, v39
	v_and_b32_e32 v33, 7, v0
	v_lshlrev_b16 v39, 3, v40
	v_or_b32_e32 v26, v26, v27
	v_or_b32_e32 v27, v29, v28
	;; [unrolled: 1-line block ×4, first 2 shown]
	v_lshlrev_b32_e32 v35, 7, v36
	v_lshlrev_b32_e32 v34, 4, v33
	v_and_b32_e32 v25, 0xffff, v25
	v_or_b32_e32 v30, v39, v38
	v_and_b32_e32 v26, 0xffff, v26
	v_and_b32_e32 v27, 0xffff, v27
	;; [unrolled: 1-line block ×4, first 2 shown]
	v_add3_u32 v35, 0, v35, v34
	v_lshl_add_u32 v25, v25, 4, 0
	v_and_b32_e32 v30, 0xffff, v30
	v_lshl_add_u32 v26, v26, 4, 0
	v_lshl_add_u32 v27, v27, 4, 0
	;; [unrolled: 1-line block ×4, first 2 shown]
	s_load_dwordx2 s[6:7], s[6:7], 0x0
	v_lshl_add_u32 v30, v30, 4, 0
	s_mov_b32 s10, 0xe8584caa
	s_mov_b32 s11, 0xbfebb67a
	;; [unrolled: 1-line block ×4, first 2 shown]
	v_cmp_gt_u32_e32 vcc_lo, 0x80, v0
	s_waitcnt vmcnt(5)
	ds_write_b128 v25, v[1:4]
	s_waitcnt vmcnt(4)
	ds_write_b128 v26, v[5:8]
	;; [unrolled: 2-line block ×6, first 2 shown]
	s_waitcnt lgkmcnt(0)
	s_barrier
	buffer_gl0_inv
	ds_read_b128 v[1:4], v35 offset:12288
	ds_read_b128 v[5:8], v35 offset:20480
	;; [unrolled: 1-line block ×5, first 2 shown]
	s_waitcnt lgkmcnt(3)
	v_add_f64 v[21:22], v[3:4], v[7:8]
	v_add_f64 v[25:26], v[1:2], v[5:6]
	v_add_f64 v[27:28], v[1:2], -v[5:6]
	s_waitcnt lgkmcnt(0)
	v_add_f64 v[31:32], v[13:14], v[17:18]
	v_add_f64 v[37:38], v[15:16], v[19:20]
	v_add_f64 v[39:40], v[3:4], -v[7:8]
	v_add_f64 v[43:44], v[15:16], -v[19:20]
	v_add_f64 v[1:2], v[9:10], v[1:2]
	v_add_f64 v[3:4], v[11:12], v[3:4]
	v_fma_f64 v[29:30], v[21:22], -0.5, v[11:12]
	ds_read_b128 v[21:24], v35
	v_fma_f64 v[25:26], v[25:26], -0.5, v[9:10]
	s_waitcnt lgkmcnt(0)
	s_barrier
	buffer_gl0_inv
	v_add_f64 v[1:2], v[1:2], v[5:6]
	v_add_f64 v[3:4], v[3:4], v[7:8]
	;; [unrolled: 1-line block ×3, first 2 shown]
	v_fma_f64 v[41:42], v[27:28], s[12:13], v[29:30]
	v_fma_f64 v[27:28], v[27:28], s[10:11], v[29:30]
	v_add_f64 v[29:30], v[21:22], v[13:14]
	v_add_f64 v[13:14], v[13:14], -v[17:18]
	v_fma_f64 v[9:10], v[31:32], -0.5, v[21:22]
	v_fma_f64 v[11:12], v[37:38], -0.5, v[23:24]
	v_fma_f64 v[21:22], v[39:40], s[10:11], v[25:26]
	v_fma_f64 v[23:24], v[39:40], s[12:13], v[25:26]
	v_add_f64 v[15:16], v[15:16], v[19:20]
	v_mul_f64 v[25:26], v[41:42], s[10:11]
	v_mul_f64 v[37:38], v[41:42], 0.5
	v_mul_f64 v[31:32], v[27:28], s[10:11]
	v_mul_f64 v[27:28], v[27:28], -0.5
	v_add_f64 v[17:18], v[29:30], v[17:18]
	v_fma_f64 v[29:30], v[43:44], s[10:11], v[9:10]
	v_fma_f64 v[39:40], v[13:14], s[12:13], v[11:12]
	;; [unrolled: 1-line block ×4, first 2 shown]
	v_add_f64 v[7:8], v[15:16], v[3:4]
	v_fma_f64 v[25:26], v[21:22], 0.5, v[25:26]
	v_fma_f64 v[37:38], v[21:22], s[12:13], v[37:38]
	v_fma_f64 v[31:32], v[23:24], -0.5, v[31:32]
	v_fma_f64 v[27:28], v[23:24], s[12:13], v[27:28]
	v_add_f64 v[5:6], v[17:18], v[1:2]
	v_add_f64 v[13:14], v[17:18], -v[1:2]
	v_add_f64 v[15:16], v[15:16], -v[3:4]
	v_add_f64 v[17:18], v[29:30], v[25:26]
	v_add_f64 v[19:20], v[39:40], v[37:38]
	;; [unrolled: 1-line block ×4, first 2 shown]
	v_add_f64 v[1:2], v[29:30], -v[25:26]
	v_add_f64 v[3:4], v[39:40], -v[37:38]
	;; [unrolled: 1-line block ×4, first 2 shown]
	v_mad_u32_u24 v25, 0x280, v36, v35
	ds_write_b128 v25, v[5:8]
	ds_write_b128 v25, v[13:16] offset:384
	ds_write_b128 v25, v[17:20] offset:128
	;; [unrolled: 1-line block ×5, first 2 shown]
	s_waitcnt lgkmcnt(0)
	s_barrier
	buffer_gl0_inv
	ds_read_b128 v[5:8], v35
	ds_read_b128 v[29:32], v35 offset:6144
	ds_read_b128 v[21:24], v35 offset:12288
	;; [unrolled: 1-line block ×3, first 2 shown]
	v_or_b32_e32 v37, 32, v36
                                        ; implicit-def: $vgpr15_vgpr16
                                        ; implicit-def: $vgpr27_vgpr28
	v_lshlrev_b32_e32 v38, 7, v37
	s_and_saveexec_b32 s10, vcc_lo
	s_cbranch_execz .LBB0_10
; %bb.9:
	v_add3_u32 v1, 0, v38, v34
	ds_read_b128 v[9:12], v35 offset:10240
	ds_read_b128 v[13:16], v35 offset:16384
	ds_read_b128 v[1:4], v1
	ds_read_b128 v[25:28], v35 offset:22528
.LBB0_10:
	s_or_b32 exec_lo, exec_lo, s10
	v_mul_lo_u16 v39, v36, 43
	v_mov_b32_e32 v40, 3
	v_mov_b32_e32 v56, 4
	v_lshrrev_b16 v60, 8, v39
	v_mul_lo_u16 v39, v60, 6
	v_sub_nc_u16 v61, v36, v39
	v_mul_u32_u24_sdwa v39, v61, v40 dst_sel:DWORD dst_unused:UNUSED_PAD src0_sel:BYTE_0 src1_sel:DWORD
	v_mul_lo_u16 v40, v37, 43
	v_lshlrev_b32_e32 v41, 4, v39
	v_lshrrev_b16 v39, 8, v40
	s_clause 0x2
	global_load_dwordx4 v[42:45], v41, s[8:9]
	global_load_dwordx4 v[46:49], v41, s[8:9] offset:16
	global_load_dwordx4 v[50:53], v41, s[8:9] offset:32
	v_mul_lo_u16 v41, v39, 6
	v_sub_nc_u16 v41, v37, v41
	v_mul_lo_u16 v57, v41, 3
	v_lshlrev_b32_sdwa v62, v56, v57 dst_sel:DWORD dst_unused:UNUSED_PAD src0_sel:DWORD src1_sel:BYTE_0
	s_waitcnt vmcnt(2) lgkmcnt(2)
	v_mul_f64 v[54:55], v[31:32], v[44:45]
	v_mul_f64 v[44:45], v[29:30], v[44:45]
	s_waitcnt vmcnt(1) lgkmcnt(1)
	v_mul_f64 v[56:57], v[23:24], v[48:49]
	v_fma_f64 v[54:55], v[29:30], v[42:43], v[54:55]
	v_fma_f64 v[58:59], v[31:32], v[42:43], -v[44:45]
	v_mul_f64 v[42:43], v[21:22], v[48:49]
	global_load_dwordx4 v[29:32], v62, s[8:9]
	v_fma_f64 v[48:49], v[21:22], v[46:47], v[56:57]
	s_waitcnt vmcnt(1) lgkmcnt(0)
	v_mul_f64 v[56:57], v[19:20], v[52:53]
	v_mul_f64 v[52:53], v[17:18], v[52:53]
	v_fma_f64 v[46:47], v[23:24], v[46:47], -v[42:43]
	s_clause 0x1
	global_load_dwordx4 v[21:24], v62, s[8:9] offset:16
	global_load_dwordx4 v[42:45], v62, s[8:9] offset:32
	s_waitcnt vmcnt(0)
	v_fma_f64 v[17:18], v[17:18], v[50:51], v[56:57]
	v_fma_f64 v[19:20], v[19:20], v[50:51], -v[52:53]
	s_barrier
	buffer_gl0_inv
	v_mul_f64 v[50:51], v[11:12], v[31:32]
	v_mul_f64 v[31:32], v[9:10], v[31:32]
	;; [unrolled: 1-line block ×4, first 2 shown]
	v_fma_f64 v[9:10], v[9:10], v[29:30], v[50:51]
	v_fma_f64 v[11:12], v[11:12], v[29:30], -v[31:32]
	v_mul_f64 v[29:30], v[27:28], v[44:45]
	v_mul_f64 v[31:32], v[25:26], v[44:45]
	v_fma_f64 v[13:14], v[13:14], v[21:22], v[52:53]
	v_fma_f64 v[15:16], v[15:16], v[21:22], -v[23:24]
	v_fma_f64 v[21:22], v[25:26], v[42:43], v[29:30]
	v_fma_f64 v[23:24], v[27:28], v[42:43], -v[31:32]
	v_add_f64 v[25:26], v[5:6], -v[48:49]
	v_add_f64 v[27:28], v[7:8], -v[46:47]
	;; [unrolled: 1-line block ×8, first 2 shown]
	v_fma_f64 v[44:45], v[5:6], 2.0, -v[25:26]
	v_fma_f64 v[46:47], v[7:8], 2.0, -v[27:28]
	;; [unrolled: 1-line block ×4, first 2 shown]
	v_add_f64 v[17:18], v[25:26], v[17:18]
	v_add_f64 v[19:20], v[27:28], -v[29:30]
	v_fma_f64 v[1:2], v[1:2], 2.0, -v[31:32]
	v_fma_f64 v[3:4], v[3:4], 2.0, -v[42:43]
	;; [unrolled: 1-line block ×4, first 2 shown]
	v_add_f64 v[13:14], v[31:32], v[13:14]
	v_add_f64 v[15:16], v[42:43], -v[15:16]
	v_add_f64 v[21:22], v[44:45], -v[5:6]
	;; [unrolled: 1-line block ×3, first 2 shown]
	v_fma_f64 v[25:26], v[25:26], 2.0, -v[17:18]
	v_fma_f64 v[27:28], v[27:28], 2.0, -v[19:20]
	v_add_f64 v[5:6], v[1:2], -v[9:10]
	v_add_f64 v[7:8], v[3:4], -v[11:12]
	v_mov_b32_e32 v9, 24
	v_fma_f64 v[11:12], v[42:43], 2.0, -v[15:16]
	v_fma_f64 v[29:30], v[44:45], 2.0, -v[21:22]
	v_mul_u32_u24_sdwa v48, v60, v9 dst_sel:DWORD dst_unused:UNUSED_PAD src0_sel:WORD_0 src1_sel:DWORD
	v_fma_f64 v[9:10], v[31:32], 2.0, -v[13:14]
	v_fma_f64 v[31:32], v[46:47], 2.0, -v[23:24]
	v_or_b32_sdwa v42, v48, v61 dst_sel:DWORD dst_unused:UNUSED_PAD src0_sel:DWORD src1_sel:BYTE_0
	v_lshlrev_b32_e32 v42, 7, v42
	v_fma_f64 v[1:2], v[1:2], 2.0, -v[5:6]
	v_fma_f64 v[3:4], v[3:4], 2.0, -v[7:8]
	v_add3_u32 v42, 0, v42, v34
	ds_write_b128 v42, v[25:28] offset:768
	ds_write_b128 v42, v[21:24] offset:1536
	ds_write_b128 v42, v[29:32]
	ds_write_b128 v42, v[17:20] offset:2304
	s_and_saveexec_b32 s10, vcc_lo
	s_cbranch_execz .LBB0_12
; %bb.11:
	v_mul_lo_u16 v17, v39, 24
	v_mov_b32_e32 v18, 7
	v_or_b32_e32 v17, v17, v41
	v_lshlrev_b32_sdwa v17, v18, v17 dst_sel:DWORD dst_unused:UNUSED_PAD src0_sel:DWORD src1_sel:BYTE_0
	v_add3_u32 v17, 0, v17, v34
	ds_write_b128 v17, v[1:4]
	ds_write_b128 v17, v[9:12] offset:768
	ds_write_b128 v17, v[5:8] offset:1536
	;; [unrolled: 1-line block ×3, first 2 shown]
.LBB0_12:
	s_or_b32 exec_lo, exec_lo, s10
	s_waitcnt lgkmcnt(0)
	s_barrier
	buffer_gl0_inv
	ds_read_b128 v[17:20], v35
	ds_read_b128 v[29:32], v35 offset:6144
	ds_read_b128 v[25:28], v35 offset:12288
	;; [unrolled: 1-line block ×3, first 2 shown]
	v_and_b32_e32 v39, 0xf8, v0
	v_lshl_add_u32 v39, v39, 4, 0
	s_and_saveexec_b32 s10, vcc_lo
	s_cbranch_execz .LBB0_14
; %bb.13:
	v_add3_u32 v1, 0, v38, v34
	v_add_nc_u32_e32 v13, v39, v34
	ds_read_b128 v[1:4], v1
	ds_read_b128 v[9:12], v13 offset:10240
	ds_read_b128 v[5:8], v13 offset:16384
	;; [unrolled: 1-line block ×3, first 2 shown]
.LBB0_14:
	s_or_b32 exec_lo, exec_lo, s10
	v_mul_lo_u16 v41, v36, 11
	v_lshrrev_b16 v60, 8, v41
	v_mov_b32_e32 v41, 3
	v_mul_lo_u16 v42, v60, 24
	v_sub_nc_u16 v61, v36, v42
	v_mul_u32_u24_sdwa v42, v61, v41 dst_sel:DWORD dst_unused:UNUSED_PAD src0_sel:BYTE_0 src1_sel:DWORD
	v_lshlrev_b32_e32 v50, 4, v42
	s_clause 0x2
	global_load_dwordx4 v[42:45], v50, s[8:9] offset:288
	global_load_dwordx4 v[46:49], v50, s[8:9] offset:304
	;; [unrolled: 1-line block ×3, first 2 shown]
	s_waitcnt vmcnt(0) lgkmcnt(0)
	s_barrier
	buffer_gl0_inv
	v_mul_f64 v[54:55], v[31:32], v[44:45]
	v_mul_f64 v[44:45], v[29:30], v[44:45]
	;; [unrolled: 1-line block ×6, first 2 shown]
	v_fma_f64 v[29:30], v[29:30], v[42:43], v[54:55]
	v_fma_f64 v[31:32], v[31:32], v[42:43], -v[44:45]
	v_fma_f64 v[25:26], v[25:26], v[46:47], v[56:57]
	v_fma_f64 v[27:28], v[27:28], v[46:47], -v[48:49]
	;; [unrolled: 2-line block ×3, first 2 shown]
	v_mov_b32_e32 v46, 0x60
	v_add_f64 v[25:26], v[17:18], -v[25:26]
	v_add_f64 v[27:28], v[19:20], -v[27:28]
	;; [unrolled: 1-line block ×4, first 2 shown]
	v_fma_f64 v[42:43], v[17:18], 2.0, -v[25:26]
	v_fma_f64 v[44:45], v[19:20], 2.0, -v[27:28]
	;; [unrolled: 1-line block ×4, first 2 shown]
	v_add_f64 v[17:18], v[25:26], v[23:24]
	v_add_f64 v[19:20], v[27:28], -v[21:22]
	v_add_f64 v[21:22], v[42:43], -v[29:30]
	;; [unrolled: 1-line block ×3, first 2 shown]
	v_fma_f64 v[25:26], v[25:26], 2.0, -v[17:18]
	v_fma_f64 v[27:28], v[27:28], 2.0, -v[19:20]
	;; [unrolled: 1-line block ×4, first 2 shown]
	v_mul_u32_u24_sdwa v42, v60, v46 dst_sel:DWORD dst_unused:UNUSED_PAD src0_sel:WORD_0 src1_sel:DWORD
	v_or_b32_sdwa v42, v42, v61 dst_sel:DWORD dst_unused:UNUSED_PAD src0_sel:DWORD src1_sel:BYTE_0
	v_lshlrev_b32_e32 v42, 7, v42
	v_add3_u32 v42, 0, v42, v34
	ds_write_b128 v42, v[25:28] offset:3072
	ds_write_b128 v42, v[21:24] offset:6144
	ds_write_b128 v42, v[29:32]
	ds_write_b128 v42, v[17:20] offset:9216
	s_and_saveexec_b32 s10, vcc_lo
	s_cbranch_execz .LBB0_16
; %bb.15:
	v_lshrrev_b16 v17, 10, v40
	v_mul_lo_u16 v17, v17, 24
	v_sub_nc_u16 v42, v37, v17
	v_mul_u32_u24_sdwa v17, v42, v41 dst_sel:DWORD dst_unused:UNUSED_PAD src0_sel:BYTE_0 src1_sel:DWORD
	v_lshlrev_b32_e32 v25, 4, v17
	s_clause 0x2
	global_load_dwordx4 v[17:20], v25, s[8:9] offset:304
	global_load_dwordx4 v[21:24], v25, s[8:9] offset:288
	;; [unrolled: 1-line block ×3, first 2 shown]
	s_waitcnt vmcnt(2)
	v_mul_f64 v[29:30], v[5:6], v[19:20]
	s_waitcnt vmcnt(1)
	v_mul_f64 v[31:32], v[11:12], v[23:24]
	v_mul_f64 v[23:24], v[9:10], v[23:24]
	s_waitcnt vmcnt(0)
	v_mul_f64 v[40:41], v[13:14], v[27:28]
	v_mul_f64 v[19:20], v[7:8], v[19:20]
	;; [unrolled: 1-line block ×3, first 2 shown]
	v_fma_f64 v[7:8], v[7:8], v[17:18], -v[29:30]
	v_fma_f64 v[9:10], v[9:10], v[21:22], v[31:32]
	v_fma_f64 v[11:12], v[11:12], v[21:22], -v[23:24]
	v_fma_f64 v[15:16], v[15:16], v[25:26], -v[40:41]
	v_fma_f64 v[5:6], v[5:6], v[17:18], v[19:20]
	v_fma_f64 v[13:14], v[13:14], v[25:26], v[27:28]
	v_add_f64 v[17:18], v[3:4], -v[7:8]
	v_add_f64 v[7:8], v[11:12], -v[15:16]
	;; [unrolled: 1-line block ×4, first 2 shown]
	v_fma_f64 v[13:14], v[3:4], 2.0, -v[17:18]
	v_fma_f64 v[11:12], v[11:12], 2.0, -v[7:8]
	;; [unrolled: 1-line block ×4, first 2 shown]
	v_add_f64 v[3:4], v[17:18], -v[5:6]
	v_add_f64 v[1:2], v[15:16], v[7:8]
	v_add_f64 v[7:8], v[13:14], -v[11:12]
	v_add_f64 v[5:6], v[19:20], -v[9:10]
	v_fma_f64 v[11:12], v[17:18], 2.0, -v[3:4]
	v_fma_f64 v[9:10], v[15:16], 2.0, -v[1:2]
	v_mov_b32_e32 v17, 7
	v_lshlrev_b32_sdwa v17, v17, v42 dst_sel:DWORD dst_unused:UNUSED_PAD src0_sel:DWORD src1_sel:BYTE_0
	v_add3_u32 v17, 0, v17, v34
	v_fma_f64 v[15:16], v[13:14], 2.0, -v[7:8]
	v_fma_f64 v[13:14], v[19:20], 2.0, -v[5:6]
	ds_write_b128 v17, v[9:12] offset:15360
	ds_write_b128 v17, v[5:8] offset:18432
	;; [unrolled: 1-line block ×4, first 2 shown]
.LBB0_16:
	s_or_b32 exec_lo, exec_lo, s10
	v_or_b32_e32 v1, 0xffffffa0, v36
	v_cmp_gt_u32_e32 vcc_lo, 0x300, v0
	v_mov_b32_e32 v43, 0
	v_or_b32_e32 v3, 0xffffffc0, v36
	v_or_b32_e32 v53, 64, v36
	;; [unrolled: 1-line block ×3, first 2 shown]
	v_cndmask_b32_e32 v42, v1, v36, vcc_lo
	v_cmp_gt_u32_e32 vcc_lo, 0x200, v0
	v_mov_b32_e32 v45, v43
	v_mov_b32_e32 v47, v43
	s_waitcnt lgkmcnt(0)
	v_lshlrev_b64 v[1:2], 4, v[42:43]
	v_cndmask_b32_e32 v44, v3, v37, vcc_lo
	s_barrier
	buffer_gl0_inv
	v_add_nc_u32_e32 v21, v39, v34
	v_lshlrev_b32_e32 v29, 7, v53
	v_add_co_u32 v1, vcc_lo, s8, v1
	v_add_co_ci_u32_e32 v2, vcc_lo, s9, v2, vcc_lo
	v_cmp_gt_u32_e32 vcc_lo, 0x100, v0
	v_lshlrev_b64 v[5:6], 4, v[44:45]
	v_add3_u32 v30, 0, v38, v34
	v_add3_u32 v36, 0, v29, v34
	v_mad_u64_u32 v[51:52], null, s0, v33, 0
	v_cndmask_b32_e32 v46, v4, v53, vcc_lo
	v_add_co_u32 v5, vcc_lo, s8, v5
	v_add_co_ci_u32_e32 v6, vcc_lo, s9, v6, vcc_lo
	v_lshlrev_b64 v[7:8], 4, v[46:47]
	global_load_dwordx4 v[1:4], v[1:2], off offset:1440
	s_mul_i32 s7, s7, s3
	s_mul_hi_u32 s0, s6, s3
	s_lshl_b64 s[4:5], s[4:5], 4
	s_add_i32 s7, s0, s7
	v_add_co_u32 v9, vcc_lo, s8, v7
	v_add_co_ci_u32_e32 v10, vcc_lo, s9, v8, vcc_lo
	s_clause 0x1
	global_load_dwordx4 v[5:8], v[5:6], off offset:1440
	global_load_dwordx4 v[9:12], v[9:10], off offset:1440
	ds_read_b128 v[13:16], v35 offset:12288
	ds_read_b128 v[17:20], v21 offset:16384
	;; [unrolled: 1-line block ×3, first 2 shown]
	ds_read_b128 v[25:28], v35
	v_cmp_lt_u32_e32 vcc_lo, 0x2ff, v0
	ds_read_b128 v[29:32], v30
	ds_read_b128 v[38:41], v36
	v_mov_b32_e32 v0, v52
	s_mul_i32 s6, s6, s3
	s_add_u32 s3, s18, s4
	v_cndmask_b32_e64 v36, 0, 0xc0, vcc_lo
	s_addc_u32 s4, s19, s5
	s_mul_i32 s5, s2, 0x60
	s_waitcnt vmcnt(2) lgkmcnt(5)
	v_mul_f64 v[47:48], v[15:16], v[3:4]
	v_mul_f64 v[3:4], v[13:14], v[3:4]
	s_waitcnt vmcnt(1) lgkmcnt(4)
	v_mul_f64 v[34:35], v[19:20], v[7:8]
	v_mul_f64 v[7:8], v[17:18], v[7:8]
	;; [unrolled: 3-line block ×3, first 2 shown]
	v_fma_f64 v[13:14], v[13:14], v[1:2], v[47:48]
	v_fma_f64 v[2:3], v[15:16], v[1:2], -v[3:4]
	v_add_nc_u32_e32 v4, v42, v36
	v_mad_u64_u32 v[0:1], null, s1, v33, v[0:1]
	v_sub_nc_u32_e32 v1, v37, v44
	s_lshl_b64 s[0:1], s[6:7], 4
	v_mul_lo_u32 v42, v4, s2
	v_sub_nc_u32_e32 v4, v53, v46
	s_add_u32 s0, s0, s3
	v_fma_f64 v[15:16], v[17:18], v[5:6], v[34:35]
	v_fma_f64 v[6:7], v[19:20], v[5:6], -v[7:8]
	v_fma_f64 v[17:18], v[21:22], v[9:10], v[49:50]
	v_fma_f64 v[10:11], v[23:24], v[9:10], -v[11:12]
	v_mov_b32_e32 v52, v0
	v_lshlrev_b64 v[19:20], 4, v[42:43]
	v_add_nc_u32_e32 v42, s5, v42
	v_add_nc_u32_e32 v0, v1, v37
	;; [unrolled: 1-line block ×3, first 2 shown]
	v_lshlrev_b64 v[21:22], 4, v[51:52]
	s_addc_u32 s1, s1, s4
	v_lshlrev_b64 v[23:24], 4, v[42:43]
	v_mul_lo_u32 v42, v0, s2
	s_waitcnt lgkmcnt(2)
	v_add_f64 v[0:1], v[25:26], -v[13:14]
	v_add_f64 v[2:3], v[27:28], -v[2:3]
	v_add_co_u32 v37, vcc_lo, s0, v21
	v_add_co_ci_u32_e32 v48, vcc_lo, s1, v22, vcc_lo
	v_lshlrev_b64 v[33:34], 4, v[42:43]
	v_add_nc_u32_e32 v42, s5, v42
	s_waitcnt lgkmcnt(1)
	v_add_f64 v[4:5], v[29:30], -v[15:16]
	v_add_f64 v[6:7], v[31:32], -v[6:7]
	s_waitcnt lgkmcnt(0)
	v_add_f64 v[8:9], v[38:39], -v[17:18]
	v_add_f64 v[10:11], v[40:41], -v[10:11]
	v_lshlrev_b64 v[46:47], 4, v[42:43]
	v_mul_lo_u32 v42, v12, s2
	v_add_co_u32 v35, vcc_lo, v37, v19
	v_add_co_ci_u32_e32 v36, vcc_lo, v48, v20, vcc_lo
	v_add_co_u32 v44, vcc_lo, v37, v23
	v_add_co_ci_u32_e32 v45, vcc_lo, v48, v24, vcc_lo
	v_fma_f64 v[12:13], v[25:26], 2.0, -v[0:1]
	v_fma_f64 v[14:15], v[27:28], 2.0, -v[2:3]
	v_lshlrev_b64 v[26:27], 4, v[42:43]
	v_add_nc_u32_e32 v42, s5, v42
	v_add_co_u32 v24, vcc_lo, v37, v33
	v_add_co_ci_u32_e32 v25, vcc_lo, v48, v34, vcc_lo
	v_fma_f64 v[16:17], v[29:30], 2.0, -v[4:5]
	v_fma_f64 v[18:19], v[31:32], 2.0, -v[6:7]
	;; [unrolled: 1-line block ×4, first 2 shown]
	v_add_co_u32 v28, vcc_lo, v37, v46
	v_lshlrev_b64 v[30:31], 4, v[42:43]
	v_add_co_ci_u32_e32 v29, vcc_lo, v48, v47, vcc_lo
	v_add_co_u32 v26, vcc_lo, v37, v26
	v_add_co_ci_u32_e32 v27, vcc_lo, v48, v27, vcc_lo
	v_add_co_u32 v30, vcc_lo, v37, v30
	v_add_co_ci_u32_e32 v31, vcc_lo, v48, v31, vcc_lo
	global_store_dwordx4 v[35:36], v[12:15], off
	global_store_dwordx4 v[44:45], v[0:3], off
	;; [unrolled: 1-line block ×6, first 2 shown]
	s_endpgm
	.section	.rodata,"a",@progbits
	.p2align	6, 0x0
	.amdhsa_kernel fft_rtc_back_len192_factors_6_4_4_2_wgs_256_tpt_32_dp_op_CI_CI_sbrc_aligned_dirReg
		.amdhsa_group_segment_fixed_size 0
		.amdhsa_private_segment_fixed_size 0
		.amdhsa_kernarg_size 104
		.amdhsa_user_sgpr_count 6
		.amdhsa_user_sgpr_private_segment_buffer 1
		.amdhsa_user_sgpr_dispatch_ptr 0
		.amdhsa_user_sgpr_queue_ptr 0
		.amdhsa_user_sgpr_kernarg_segment_ptr 1
		.amdhsa_user_sgpr_dispatch_id 0
		.amdhsa_user_sgpr_flat_scratch_init 0
		.amdhsa_user_sgpr_private_segment_size 0
		.amdhsa_wavefront_size32 1
		.amdhsa_uses_dynamic_stack 0
		.amdhsa_system_sgpr_private_segment_wavefront_offset 0
		.amdhsa_system_sgpr_workgroup_id_x 1
		.amdhsa_system_sgpr_workgroup_id_y 0
		.amdhsa_system_sgpr_workgroup_id_z 0
		.amdhsa_system_sgpr_workgroup_info 0
		.amdhsa_system_vgpr_workitem_id 0
		.amdhsa_next_free_vgpr 63
		.amdhsa_next_free_sgpr 44
		.amdhsa_reserve_vcc 1
		.amdhsa_reserve_flat_scratch 0
		.amdhsa_float_round_mode_32 0
		.amdhsa_float_round_mode_16_64 0
		.amdhsa_float_denorm_mode_32 3
		.amdhsa_float_denorm_mode_16_64 3
		.amdhsa_dx10_clamp 1
		.amdhsa_ieee_mode 1
		.amdhsa_fp16_overflow 0
		.amdhsa_workgroup_processor_mode 1
		.amdhsa_memory_ordered 1
		.amdhsa_forward_progress 0
		.amdhsa_shared_vgpr_count 0
		.amdhsa_exception_fp_ieee_invalid_op 0
		.amdhsa_exception_fp_denorm_src 0
		.amdhsa_exception_fp_ieee_div_zero 0
		.amdhsa_exception_fp_ieee_overflow 0
		.amdhsa_exception_fp_ieee_underflow 0
		.amdhsa_exception_fp_ieee_inexact 0
		.amdhsa_exception_int_div_zero 0
	.end_amdhsa_kernel
	.text
.Lfunc_end0:
	.size	fft_rtc_back_len192_factors_6_4_4_2_wgs_256_tpt_32_dp_op_CI_CI_sbrc_aligned_dirReg, .Lfunc_end0-fft_rtc_back_len192_factors_6_4_4_2_wgs_256_tpt_32_dp_op_CI_CI_sbrc_aligned_dirReg
                                        ; -- End function
	.section	.AMDGPU.csdata,"",@progbits
; Kernel info:
; codeLenInByte = 5308
; NumSgprs: 46
; NumVgprs: 63
; ScratchSize: 0
; MemoryBound: 0
; FloatMode: 240
; IeeeMode: 1
; LDSByteSize: 0 bytes/workgroup (compile time only)
; SGPRBlocks: 5
; VGPRBlocks: 7
; NumSGPRsForWavesPerEU: 46
; NumVGPRsForWavesPerEU: 63
; Occupancy: 16
; WaveLimiterHint : 1
; COMPUTE_PGM_RSRC2:SCRATCH_EN: 0
; COMPUTE_PGM_RSRC2:USER_SGPR: 6
; COMPUTE_PGM_RSRC2:TRAP_HANDLER: 0
; COMPUTE_PGM_RSRC2:TGID_X_EN: 1
; COMPUTE_PGM_RSRC2:TGID_Y_EN: 0
; COMPUTE_PGM_RSRC2:TGID_Z_EN: 0
; COMPUTE_PGM_RSRC2:TIDIG_COMP_CNT: 0
	.text
	.p2alignl 6, 3214868480
	.fill 48, 4, 3214868480
	.type	__hip_cuid_60c6e9c5ada30d82,@object ; @__hip_cuid_60c6e9c5ada30d82
	.section	.bss,"aw",@nobits
	.globl	__hip_cuid_60c6e9c5ada30d82
__hip_cuid_60c6e9c5ada30d82:
	.byte	0                               ; 0x0
	.size	__hip_cuid_60c6e9c5ada30d82, 1

	.ident	"AMD clang version 19.0.0git (https://github.com/RadeonOpenCompute/llvm-project roc-6.4.0 25133 c7fe45cf4b819c5991fe208aaa96edf142730f1d)"
	.section	".note.GNU-stack","",@progbits
	.addrsig
	.addrsig_sym __hip_cuid_60c6e9c5ada30d82
	.amdgpu_metadata
---
amdhsa.kernels:
  - .args:
      - .actual_access:  read_only
        .address_space:  global
        .offset:         0
        .size:           8
        .value_kind:     global_buffer
      - .offset:         8
        .size:           8
        .value_kind:     by_value
      - .actual_access:  read_only
        .address_space:  global
        .offset:         16
        .size:           8
        .value_kind:     global_buffer
      - .actual_access:  read_only
        .address_space:  global
        .offset:         24
        .size:           8
        .value_kind:     global_buffer
      - .actual_access:  read_only
        .address_space:  global
        .offset:         32
        .size:           8
        .value_kind:     global_buffer
      - .offset:         40
        .size:           8
        .value_kind:     by_value
      - .actual_access:  read_only
        .address_space:  global
        .offset:         48
        .size:           8
        .value_kind:     global_buffer
      - .actual_access:  read_only
        .address_space:  global
        .offset:         56
        .size:           8
        .value_kind:     global_buffer
      - .offset:         64
        .size:           4
        .value_kind:     by_value
      - .actual_access:  read_only
        .address_space:  global
        .offset:         72
        .size:           8
        .value_kind:     global_buffer
      - .actual_access:  read_only
        .address_space:  global
        .offset:         80
        .size:           8
        .value_kind:     global_buffer
      - .actual_access:  read_only
        .address_space:  global
        .offset:         88
        .size:           8
        .value_kind:     global_buffer
      - .actual_access:  write_only
        .address_space:  global
        .offset:         96
        .size:           8
        .value_kind:     global_buffer
    .group_segment_fixed_size: 0
    .kernarg_segment_align: 8
    .kernarg_segment_size: 104
    .language:       OpenCL C
    .language_version:
      - 2
      - 0
    .max_flat_workgroup_size: 256
    .name:           fft_rtc_back_len192_factors_6_4_4_2_wgs_256_tpt_32_dp_op_CI_CI_sbrc_aligned_dirReg
    .private_segment_fixed_size: 0
    .sgpr_count:     46
    .sgpr_spill_count: 0
    .symbol:         fft_rtc_back_len192_factors_6_4_4_2_wgs_256_tpt_32_dp_op_CI_CI_sbrc_aligned_dirReg.kd
    .uniform_work_group_size: 1
    .uses_dynamic_stack: false
    .vgpr_count:     63
    .vgpr_spill_count: 0
    .wavefront_size: 32
    .workgroup_processor_mode: 1
amdhsa.target:   amdgcn-amd-amdhsa--gfx1030
amdhsa.version:
  - 1
  - 2
...

	.end_amdgpu_metadata
